;; amdgpu-corpus repo=ROCm/rocFFT kind=compiled arch=gfx1201 opt=O3
	.text
	.amdgcn_target "amdgcn-amd-amdhsa--gfx1201"
	.amdhsa_code_object_version 6
	.protected	fft_rtc_back_len189_factors_7_3_3_3_wgs_63_tpt_21_half_op_CI_CI_unitstride_sbrr_dirReg ; -- Begin function fft_rtc_back_len189_factors_7_3_3_3_wgs_63_tpt_21_half_op_CI_CI_unitstride_sbrr_dirReg
	.globl	fft_rtc_back_len189_factors_7_3_3_3_wgs_63_tpt_21_half_op_CI_CI_unitstride_sbrr_dirReg
	.p2align	8
	.type	fft_rtc_back_len189_factors_7_3_3_3_wgs_63_tpt_21_half_op_CI_CI_unitstride_sbrr_dirReg,@function
fft_rtc_back_len189_factors_7_3_3_3_wgs_63_tpt_21_half_op_CI_CI_unitstride_sbrr_dirReg: ; @fft_rtc_back_len189_factors_7_3_3_3_wgs_63_tpt_21_half_op_CI_CI_unitstride_sbrr_dirReg
; %bb.0:
	s_load_b128 s[8:11], s[0:1], 0x0
	v_mul_u32_u24_e32 v1, 0xc31, v0
	s_clause 0x1
	s_load_b128 s[4:7], s[0:1], 0x58
	s_load_b128 s[12:15], s[0:1], 0x18
	v_mov_b32_e32 v10, 0
	v_mov_b32_e32 v6, 0
	;; [unrolled: 1-line block ×3, first 2 shown]
	v_lshrrev_b32_e32 v1, 16, v1
	s_delay_alu instid0(VALU_DEP_1) | instskip(SKIP_1) | instid1(VALU_DEP_4)
	v_mad_co_u64_u32 v[8:9], null, ttmp9, 3, v[1:2]
	v_mov_b32_e32 v9, v10
	v_dual_mov_b32 v1, v6 :: v_dual_mov_b32 v2, v7
	s_delay_alu instid0(VALU_DEP_2) | instskip(SKIP_2) | instid1(VALU_DEP_1)
	v_dual_mov_b32 v3, v8 :: v_dual_mov_b32 v4, v9
	s_wait_kmcnt 0x0
	v_cmp_lt_u64_e64 s2, s[10:11], 2
	s_and_b32 vcc_lo, exec_lo, s2
	s_cbranch_vccnz .LBB0_8
; %bb.1:
	s_load_b64 s[2:3], s[0:1], 0x10
	v_dual_mov_b32 v6, 0 :: v_dual_mov_b32 v13, v9
	v_dual_mov_b32 v7, 0 :: v_dual_mov_b32 v12, v8
	s_delay_alu instid0(VALU_DEP_2) | instskip(SKIP_2) | instid1(VALU_DEP_2)
	v_mov_b32_e32 v1, v6
	s_add_nc_u64 s[16:17], s[14:15], 8
	s_add_nc_u64 s[18:19], s[12:13], 8
	v_mov_b32_e32 v2, v7
	s_mov_b64 s[20:21], 1
	s_wait_kmcnt 0x0
	s_add_nc_u64 s[22:23], s[2:3], 8
	s_mov_b32 s3, 0
.LBB0_2:                                ; =>This Inner Loop Header: Depth=1
	s_load_b64 s[24:25], s[22:23], 0x0
                                        ; implicit-def: $vgpr3_vgpr4
	s_mov_b32 s2, exec_lo
	s_wait_kmcnt 0x0
	v_or_b32_e32 v11, s25, v13
	s_delay_alu instid0(VALU_DEP_1)
	v_cmpx_ne_u64_e32 0, v[10:11]
	s_wait_alu 0xfffe
	s_xor_b32 s26, exec_lo, s2
	s_cbranch_execz .LBB0_4
; %bb.3:                                ;   in Loop: Header=BB0_2 Depth=1
	s_cvt_f32_u32 s2, s24
	s_cvt_f32_u32 s27, s25
	s_sub_nc_u64 s[30:31], 0, s[24:25]
	s_wait_alu 0xfffe
	s_delay_alu instid0(SALU_CYCLE_1) | instskip(SKIP_1) | instid1(SALU_CYCLE_2)
	s_fmamk_f32 s2, s27, 0x4f800000, s2
	s_wait_alu 0xfffe
	v_s_rcp_f32 s2, s2
	s_delay_alu instid0(TRANS32_DEP_1) | instskip(SKIP_1) | instid1(SALU_CYCLE_2)
	s_mul_f32 s2, s2, 0x5f7ffffc
	s_wait_alu 0xfffe
	s_mul_f32 s27, s2, 0x2f800000
	s_wait_alu 0xfffe
	s_delay_alu instid0(SALU_CYCLE_2) | instskip(SKIP_1) | instid1(SALU_CYCLE_2)
	s_trunc_f32 s27, s27
	s_wait_alu 0xfffe
	s_fmamk_f32 s2, s27, 0xcf800000, s2
	s_cvt_u32_f32 s29, s27
	s_wait_alu 0xfffe
	s_delay_alu instid0(SALU_CYCLE_1) | instskip(SKIP_1) | instid1(SALU_CYCLE_2)
	s_cvt_u32_f32 s28, s2
	s_wait_alu 0xfffe
	s_mul_u64 s[34:35], s[30:31], s[28:29]
	s_wait_alu 0xfffe
	s_mul_hi_u32 s37, s28, s35
	s_mul_i32 s36, s28, s35
	s_mul_hi_u32 s2, s28, s34
	s_mul_i32 s33, s29, s34
	s_wait_alu 0xfffe
	s_add_nc_u64 s[36:37], s[2:3], s[36:37]
	s_mul_hi_u32 s27, s29, s34
	s_mul_hi_u32 s38, s29, s35
	s_add_co_u32 s2, s36, s33
	s_wait_alu 0xfffe
	s_add_co_ci_u32 s2, s37, s27
	s_mul_i32 s34, s29, s35
	s_add_co_ci_u32 s35, s38, 0
	s_wait_alu 0xfffe
	s_add_nc_u64 s[34:35], s[2:3], s[34:35]
	s_wait_alu 0xfffe
	v_add_co_u32 v3, s2, s28, s34
	s_delay_alu instid0(VALU_DEP_1) | instskip(SKIP_1) | instid1(VALU_DEP_1)
	s_cmp_lg_u32 s2, 0
	s_add_co_ci_u32 s29, s29, s35
	v_readfirstlane_b32 s28, v3
	s_wait_alu 0xfffe
	s_delay_alu instid0(VALU_DEP_1)
	s_mul_u64 s[30:31], s[30:31], s[28:29]
	s_wait_alu 0xfffe
	s_mul_hi_u32 s35, s28, s31
	s_mul_i32 s34, s28, s31
	s_mul_hi_u32 s2, s28, s30
	s_mul_i32 s33, s29, s30
	s_wait_alu 0xfffe
	s_add_nc_u64 s[34:35], s[2:3], s[34:35]
	s_mul_hi_u32 s27, s29, s30
	s_mul_hi_u32 s28, s29, s31
	s_wait_alu 0xfffe
	s_add_co_u32 s2, s34, s33
	s_add_co_ci_u32 s2, s35, s27
	s_mul_i32 s30, s29, s31
	s_add_co_ci_u32 s31, s28, 0
	s_wait_alu 0xfffe
	s_add_nc_u64 s[30:31], s[2:3], s[30:31]
	s_wait_alu 0xfffe
	v_add_co_u32 v5, s2, v3, s30
	s_delay_alu instid0(VALU_DEP_1) | instskip(SKIP_1) | instid1(VALU_DEP_1)
	s_cmp_lg_u32 s2, 0
	s_add_co_ci_u32 s2, s29, s31
	v_mul_hi_u32 v9, v12, v5
	s_wait_alu 0xfffe
	v_mad_co_u64_u32 v[3:4], null, v12, s2, 0
	v_mad_co_u64_u32 v[14:15], null, v13, v5, 0
	;; [unrolled: 1-line block ×3, first 2 shown]
	s_delay_alu instid0(VALU_DEP_3) | instskip(SKIP_1) | instid1(VALU_DEP_4)
	v_add_co_u32 v3, vcc_lo, v9, v3
	s_wait_alu 0xfffd
	v_add_co_ci_u32_e32 v4, vcc_lo, 0, v4, vcc_lo
	s_delay_alu instid0(VALU_DEP_2) | instskip(SKIP_1) | instid1(VALU_DEP_2)
	v_add_co_u32 v3, vcc_lo, v3, v14
	s_wait_alu 0xfffd
	v_add_co_ci_u32_e32 v3, vcc_lo, v4, v15, vcc_lo
	s_wait_alu 0xfffd
	v_add_co_ci_u32_e32 v4, vcc_lo, 0, v17, vcc_lo
	s_delay_alu instid0(VALU_DEP_2) | instskip(SKIP_1) | instid1(VALU_DEP_2)
	v_add_co_u32 v5, vcc_lo, v3, v16
	s_wait_alu 0xfffd
	v_add_co_ci_u32_e32 v9, vcc_lo, 0, v4, vcc_lo
	s_delay_alu instid0(VALU_DEP_2) | instskip(SKIP_1) | instid1(VALU_DEP_3)
	v_mul_lo_u32 v11, s25, v5
	v_mad_co_u64_u32 v[3:4], null, s24, v5, 0
	v_mul_lo_u32 v14, s24, v9
	s_delay_alu instid0(VALU_DEP_2) | instskip(NEXT) | instid1(VALU_DEP_2)
	v_sub_co_u32 v3, vcc_lo, v12, v3
	v_add3_u32 v4, v4, v14, v11
	s_delay_alu instid0(VALU_DEP_1) | instskip(SKIP_1) | instid1(VALU_DEP_1)
	v_sub_nc_u32_e32 v11, v13, v4
	s_wait_alu 0xfffd
	v_subrev_co_ci_u32_e64 v11, s2, s25, v11, vcc_lo
	v_add_co_u32 v14, s2, v5, 2
	s_wait_alu 0xf1ff
	v_add_co_ci_u32_e64 v15, s2, 0, v9, s2
	v_sub_co_u32 v16, s2, v3, s24
	v_sub_co_ci_u32_e32 v4, vcc_lo, v13, v4, vcc_lo
	s_wait_alu 0xf1ff
	v_subrev_co_ci_u32_e64 v11, s2, 0, v11, s2
	s_delay_alu instid0(VALU_DEP_3) | instskip(NEXT) | instid1(VALU_DEP_3)
	v_cmp_le_u32_e32 vcc_lo, s24, v16
	v_cmp_eq_u32_e64 s2, s25, v4
	s_wait_alu 0xfffd
	v_cndmask_b32_e64 v16, 0, -1, vcc_lo
	v_cmp_le_u32_e32 vcc_lo, s25, v11
	s_wait_alu 0xfffd
	v_cndmask_b32_e64 v17, 0, -1, vcc_lo
	v_cmp_le_u32_e32 vcc_lo, s24, v3
	;; [unrolled: 3-line block ×3, first 2 shown]
	s_wait_alu 0xfffd
	v_cndmask_b32_e64 v18, 0, -1, vcc_lo
	v_cmp_eq_u32_e32 vcc_lo, s25, v11
	s_wait_alu 0xf1ff
	s_delay_alu instid0(VALU_DEP_2)
	v_cndmask_b32_e64 v3, v18, v3, s2
	s_wait_alu 0xfffd
	v_cndmask_b32_e32 v11, v17, v16, vcc_lo
	v_add_co_u32 v16, vcc_lo, v5, 1
	s_wait_alu 0xfffd
	v_add_co_ci_u32_e32 v17, vcc_lo, 0, v9, vcc_lo
	s_delay_alu instid0(VALU_DEP_3) | instskip(SKIP_1) | instid1(VALU_DEP_2)
	v_cmp_ne_u32_e32 vcc_lo, 0, v11
	s_wait_alu 0xfffd
	v_dual_cndmask_b32 v4, v17, v15 :: v_dual_cndmask_b32 v11, v16, v14
	v_cmp_ne_u32_e32 vcc_lo, 0, v3
	s_wait_alu 0xfffd
	s_delay_alu instid0(VALU_DEP_2) | instskip(NEXT) | instid1(VALU_DEP_3)
	v_cndmask_b32_e32 v4, v9, v4, vcc_lo
	v_cndmask_b32_e32 v3, v5, v11, vcc_lo
.LBB0_4:                                ;   in Loop: Header=BB0_2 Depth=1
	s_wait_alu 0xfffe
	s_and_not1_saveexec_b32 s2, s26
	s_cbranch_execz .LBB0_6
; %bb.5:                                ;   in Loop: Header=BB0_2 Depth=1
	v_cvt_f32_u32_e32 v3, s24
	s_sub_co_i32 s26, 0, s24
	s_delay_alu instid0(VALU_DEP_1) | instskip(NEXT) | instid1(TRANS32_DEP_1)
	v_rcp_iflag_f32_e32 v3, v3
	v_mul_f32_e32 v3, 0x4f7ffffe, v3
	s_delay_alu instid0(VALU_DEP_1) | instskip(SKIP_1) | instid1(VALU_DEP_1)
	v_cvt_u32_f32_e32 v3, v3
	s_wait_alu 0xfffe
	v_mul_lo_u32 v4, s26, v3
	s_delay_alu instid0(VALU_DEP_1) | instskip(NEXT) | instid1(VALU_DEP_1)
	v_mul_hi_u32 v4, v3, v4
	v_add_nc_u32_e32 v3, v3, v4
	s_delay_alu instid0(VALU_DEP_1) | instskip(NEXT) | instid1(VALU_DEP_1)
	v_mul_hi_u32 v3, v12, v3
	v_mul_lo_u32 v4, v3, s24
	v_add_nc_u32_e32 v5, 1, v3
	s_delay_alu instid0(VALU_DEP_2) | instskip(NEXT) | instid1(VALU_DEP_1)
	v_sub_nc_u32_e32 v4, v12, v4
	v_subrev_nc_u32_e32 v9, s24, v4
	v_cmp_le_u32_e32 vcc_lo, s24, v4
	s_wait_alu 0xfffd
	s_delay_alu instid0(VALU_DEP_2) | instskip(SKIP_1) | instid1(VALU_DEP_2)
	v_cndmask_b32_e32 v4, v4, v9, vcc_lo
	v_cndmask_b32_e32 v3, v3, v5, vcc_lo
	v_cmp_le_u32_e32 vcc_lo, s24, v4
	s_delay_alu instid0(VALU_DEP_2) | instskip(SKIP_1) | instid1(VALU_DEP_1)
	v_dual_mov_b32 v4, v10 :: v_dual_add_nc_u32 v5, 1, v3
	s_wait_alu 0xfffd
	v_cndmask_b32_e32 v3, v3, v5, vcc_lo
.LBB0_6:                                ;   in Loop: Header=BB0_2 Depth=1
	s_wait_alu 0xfffe
	s_or_b32 exec_lo, exec_lo, s2
	v_mul_lo_u32 v5, v4, s24
	s_delay_alu instid0(VALU_DEP_2)
	v_mul_lo_u32 v9, v3, s25
	s_load_b64 s[26:27], s[18:19], 0x0
	v_mad_co_u64_u32 v[14:15], null, v3, s24, 0
	s_load_b64 s[24:25], s[16:17], 0x0
	s_add_nc_u64 s[20:21], s[20:21], 1
	s_add_nc_u64 s[16:17], s[16:17], 8
	s_wait_alu 0xfffe
	v_cmp_ge_u64_e64 s2, s[20:21], s[10:11]
	s_add_nc_u64 s[18:19], s[18:19], 8
	s_add_nc_u64 s[22:23], s[22:23], 8
	v_add3_u32 v5, v15, v9, v5
	v_sub_co_u32 v9, vcc_lo, v12, v14
	s_wait_alu 0xfffd
	s_delay_alu instid0(VALU_DEP_2) | instskip(SKIP_2) | instid1(VALU_DEP_1)
	v_sub_co_ci_u32_e32 v5, vcc_lo, v13, v5, vcc_lo
	s_and_b32 vcc_lo, exec_lo, s2
	s_wait_kmcnt 0x0
	v_mul_lo_u32 v11, s26, v5
	v_mul_lo_u32 v12, s27, v9
	v_mad_co_u64_u32 v[6:7], null, s26, v9, v[6:7]
	v_mul_lo_u32 v5, s24, v5
	v_mul_lo_u32 v13, s25, v9
	v_mad_co_u64_u32 v[1:2], null, s24, v9, v[1:2]
	s_delay_alu instid0(VALU_DEP_4) | instskip(NEXT) | instid1(VALU_DEP_2)
	v_add3_u32 v7, v12, v7, v11
	v_add3_u32 v2, v13, v2, v5
	s_wait_alu 0xfffe
	s_cbranch_vccnz .LBB0_8
; %bb.7:                                ;   in Loop: Header=BB0_2 Depth=1
	v_dual_mov_b32 v13, v4 :: v_dual_mov_b32 v12, v3
	s_branch .LBB0_2
.LBB0_8:
	s_load_b64 s[0:1], s[0:1], 0x28
	v_mul_hi_u32 v5, 0xaaaaaaab, v8
	v_mul_hi_u32 v9, 0xc30c30d, v0
	s_lshl_b64 s[10:11], s[10:11], 3
                                        ; implicit-def: $vgpr21
	s_delay_alu instid0(VALU_DEP_2) | instskip(NEXT) | instid1(VALU_DEP_1)
	v_lshrrev_b32_e32 v5, 1, v5
	v_lshl_add_u32 v5, v5, 1, v5
	s_delay_alu instid0(VALU_DEP_1) | instskip(SKIP_3) | instid1(VALU_DEP_1)
	v_sub_nc_u32_e32 v8, v8, v5
	s_wait_kmcnt 0x0
	v_cmp_gt_u64_e32 vcc_lo, s[0:1], v[3:4]
	v_cmp_le_u64_e64 s0, s[0:1], v[3:4]
                                        ; implicit-def: $vgpr5
	s_and_saveexec_b32 s1, s0
	s_wait_alu 0xfffe
	s_xor_b32 s0, exec_lo, s1
; %bb.9:
	v_mul_u32_u24_e32 v5, 21, v9
                                        ; implicit-def: $vgpr9
                                        ; implicit-def: $vgpr6_vgpr7
	s_delay_alu instid0(VALU_DEP_1) | instskip(NEXT) | instid1(VALU_DEP_1)
	v_sub_nc_u32_e32 v5, v0, v5
                                        ; implicit-def: $vgpr0
	v_add_nc_u32_e32 v21, 21, v5
; %bb.10:
	s_wait_alu 0xfffe
	s_or_saveexec_b32 s1, s0
	v_mul_u32_u24_e32 v8, 0xbd, v8
	s_add_nc_u64 s[2:3], s[14:15], s[10:11]
	s_delay_alu instid0(VALU_DEP_1)
	v_lshlrev_b32_e32 v20, 2, v8
	s_wait_alu 0xfffe
	s_xor_b32 exec_lo, exec_lo, s1
	s_cbranch_execz .LBB0_12
; %bb.11:
	s_add_nc_u64 s[10:11], s[12:13], s[10:11]
	v_lshlrev_b64_e32 v[6:7], 2, v[6:7]
	s_load_b64 s[10:11], s[10:11], 0x0
	s_wait_kmcnt 0x0
	v_mul_lo_u32 v5, s11, v3
	v_mul_lo_u32 v8, s10, v4
	v_mad_co_u64_u32 v[10:11], null, s10, v3, 0
	s_delay_alu instid0(VALU_DEP_1) | instskip(SKIP_1) | instid1(VALU_DEP_2)
	v_add3_u32 v11, v11, v8, v5
	v_mul_u32_u24_e32 v5, 21, v9
	v_lshlrev_b64_e32 v[8:9], 2, v[10:11]
	s_delay_alu instid0(VALU_DEP_2) | instskip(NEXT) | instid1(VALU_DEP_1)
	v_sub_nc_u32_e32 v5, v0, v5
	v_add_nc_u32_e32 v21, 21, v5
	s_delay_alu instid0(VALU_DEP_3) | instskip(SKIP_1) | instid1(VALU_DEP_4)
	v_add_co_u32 v0, s0, s4, v8
	s_wait_alu 0xf1ff
	v_add_co_ci_u32_e64 v8, s0, s5, v9, s0
	v_lshlrev_b32_e32 v9, 2, v5
	s_delay_alu instid0(VALU_DEP_3) | instskip(SKIP_1) | instid1(VALU_DEP_3)
	v_add_co_u32 v0, s0, v0, v6
	s_wait_alu 0xf1ff
	v_add_co_ci_u32_e64 v7, s0, v8, v7, s0
	s_delay_alu instid0(VALU_DEP_2) | instskip(SKIP_1) | instid1(VALU_DEP_2)
	v_add_co_u32 v6, s0, v0, v9
	s_wait_alu 0xf1ff
	v_add_co_ci_u32_e64 v7, s0, 0, v7, s0
	s_clause 0x8
	global_load_b32 v0, v[6:7], off
	global_load_b32 v8, v[6:7], off offset:84
	global_load_b32 v10, v[6:7], off offset:168
	;; [unrolled: 1-line block ×8, first 2 shown]
	v_add3_u32 v7, 0, v20, v9
	s_wait_loadcnt 0x7
	ds_store_2addr_b32 v7, v0, v8 offset1:21
	s_wait_loadcnt 0x5
	ds_store_2addr_b32 v7, v10, v11 offset0:42 offset1:63
	s_wait_loadcnt 0x3
	ds_store_2addr_b32 v7, v12, v13 offset0:84 offset1:105
	;; [unrolled: 2-line block ×3, first 2 shown]
	s_wait_loadcnt 0x0
	ds_store_b32 v7, v6 offset:672
.LBB0_12:
	s_or_b32 exec_lo, exec_lo, s1
	v_lshlrev_b32_e32 v19, 2, v5
	s_load_b64 s[2:3], s[2:3], 0x0
	global_wb scope:SCOPE_SE
	s_wait_dscnt 0x0
	s_wait_kmcnt 0x0
	s_barrier_signal -1
	s_barrier_wait -1
	v_add_nc_u32_e32 v0, 0, v19
	global_inv scope:SCOPE_SE
	v_cmp_gt_u32_e64 s0, 6, v5
	v_add_nc_u32_e32 v18, v0, v20
	v_add_nc_u32_e32 v0, 0, v20
	ds_load_2addr_b32 v[6:7], v18 offset0:21 offset1:27
	ds_load_2addr_b32 v[10:11], v18 offset0:48 offset1:54
	;; [unrolled: 1-line block ×6, first 2 shown]
	v_add_nc_u32_e32 v19, v0, v19
	v_mad_u32_u24 v23, v5, 24, v18
	ds_load_b32 v22, v18 offset:732
	ds_load_b32 v24, v19
	global_wb scope:SCOPE_SE
	s_wait_dscnt 0x0
	s_barrier_signal -1
	s_barrier_wait -1
	global_inv scope:SCOPE_SE
	v_pk_add_f16 v25, v7, v13
	v_pk_add_f16 v26, v11, v15
	;; [unrolled: 1-line block ×3, first 2 shown]
	v_pk_add_f16 v11, v11, v15 neg_lo:[0,1] neg_hi:[0,1]
	v_pk_add_f16 v9, v17, v9 neg_lo:[0,1] neg_hi:[0,1]
	;; [unrolled: 1-line block ×3, first 2 shown]
	v_pk_add_f16 v13, v26, v25
	v_pk_add_f16 v15, v26, v25 neg_lo:[0,1] neg_hi:[0,1]
	v_pk_add_f16 v17, v25, v27 neg_lo:[0,1] neg_hi:[0,1]
	v_pk_add_f16 v25, v9, v11
	v_pk_add_f16 v28, v7, v9 neg_lo:[0,1] neg_hi:[0,1]
	v_pk_add_f16 v29, v11, v7 neg_lo:[0,1] neg_hi:[0,1]
	;; [unrolled: 1-line block ×3, first 2 shown]
	v_pk_add_f16 v11, v27, v13
	v_pk_add_f16 v26, v27, v26 neg_lo:[0,1] neg_hi:[0,1]
	v_pk_mul_f16 v13, 0x3a52, v17 op_sel_hi:[0,1]
	v_pk_mul_f16 v15, 0x39e0, v15 op_sel_hi:[0,1]
	;; [unrolled: 1-line block ×3, first 2 shown]
	v_pk_add_f16 v7, v25, v7
	v_pk_add_f16 v24, v24, v11
	v_pk_mul_f16 v25, 0xb574, v28 op_sel_hi:[0,1]
	v_pk_add_f16 v27, v13, v15 op_sel:[1,1] op_sel_hi:[0,0] neg_lo:[1,1] neg_hi:[1,1]
	v_pk_fma_f16 v28, 0xb574, v28, v17 op_sel_hi:[0,1,1] neg_lo:[0,1,1] neg_hi:[0,1,1]
	v_pk_fma_f16 v15, 0x2b26, v26, v15 op_sel_hi:[0,1,1] neg_lo:[0,1,0] neg_hi:[0,1,0]
	v_pk_fma_f16 v11, 0xbcab, v11, v24 op_sel_hi:[0,1,1]
	v_pk_fma_f16 v17, 0x3846, v9, v17 op_sel_hi:[0,1,1] neg_lo:[0,1,0] neg_hi:[0,1,0]
	v_pk_fma_f16 v13, 0x2b26, v26, v13 op_sel_hi:[0,1,1]
	v_pk_fma_f16 v9, 0x3846, v9, v25 op_sel_hi:[0,1,1]
	;; [unrolled: 1-line block ×3, first 2 shown]
	v_pk_add_f16 v26, v27, v11 op_sel:[0,1] op_sel_hi:[1,0]
	v_pk_fma_f16 v17, 0xb70e, v7, v17 op_sel_hi:[0,1,1]
	v_pk_add_f16 v15, v15, v11
	v_pk_fma_f16 v7, 0xb70e, v7, v9 op_sel_hi:[0,1,1]
	v_pk_add_f16 v9, v13, v11
	v_pk_add_f16 v11, v26, v25
	v_pk_add_f16 v13, v26, v25 neg_lo:[0,1] neg_hi:[0,1]
	v_pk_add_f16 v25, v15, v17 op_sel:[0,1] op_sel_hi:[1,0] neg_lo:[0,1] neg_hi:[0,1]
	v_pk_add_f16 v15, v15, v17 op_sel:[0,1] op_sel_hi:[1,0]
	v_pk_add_f16 v17, v9, v7 op_sel:[0,1] op_sel_hi:[1,0]
	v_pk_add_f16 v7, v9, v7 op_sel:[0,1] op_sel_hi:[1,0] neg_lo:[0,1] neg_hi:[0,1]
	v_alignbit_b32 v9, v13, v11, 16
	v_alignbit_b32 v11, v11, v13, 16
	v_bfi_b32 v26, 0xffff, v25, v15
	v_bfi_b32 v15, 0xffff, v15, v25
	;; [unrolled: 1-line block ×4, first 2 shown]
	ds_store_2addr_b32 v23, v24, v27 offset1:1
	ds_store_2addr_b32 v23, v9, v26 offset0:2 offset1:3
	ds_store_2addr_b32 v23, v15, v11 offset0:4 offset1:5
	ds_store_b32 v23, v7 offset:24
	s_and_saveexec_b32 s1, s0
	s_cbranch_execz .LBB0_14
; %bb.13:
	v_pk_add_f16 v7, v10, v22
	v_pk_add_f16 v11, v8, v12
	v_pk_add_f16 v10, v10, v22 neg_lo:[0,1] neg_hi:[0,1]
	v_pk_add_f16 v13, v14, v16 neg_lo:[0,1] neg_hi:[0,1]
	;; [unrolled: 1-line block ×3, first 2 shown]
	v_pk_add_f16 v9, v16, v14
	v_pk_add_f16 v14, v11, v7
	v_mul_i32_i24_e32 v12, 28, v21
	v_alignbit_b32 v16, v10, v13, 16
	v_alignbit_b32 v17, v13, v8, 16
	v_bfi_b32 v15, 0xffff, v7, v9
	v_bfi_b32 v22, 0xffff, v9, v7
	;; [unrolled: 1-line block ×3, first 2 shown]
	v_alignbit_b32 v24, v13, v10, 16
	v_alignbit_b32 v25, v8, v13, 16
	v_pk_add_f16 v16, v16, v17 neg_lo:[0,1] neg_hi:[0,1]
	v_bfi_b32 v17, 0xffff, v9, v11
	v_pk_add_f16 v22, v22, v23 neg_lo:[0,1] neg_hi:[0,1]
	v_pk_add_f16 v9, v9, v14
	v_pk_add_f16 v23, v24, v25 neg_lo:[0,1] neg_hi:[0,1]
	v_pk_mul_f16 v16, 0xb5743846, v16
	v_pk_add_f16 v14, v15, v17 neg_lo:[0,1] neg_hi:[0,1]
	v_pk_add_f16 v13, v13, v8
	v_pk_mul_f16 v15, 0x3a522b26, v22
	v_pk_add_f16 v6, v6, v9
	v_pk_fma_f16 v17, 0x3846b574, v23, v16
	v_pk_mul_f16 v24, 0x2b263a52, v14
	v_pk_mul_f16 v23, 0x3846b574, v23
	v_pk_add_f16 v13, v13, v10
	v_pk_fma_f16 v14, 0x2b263a52, v14, v15
	v_pk_add_f16 v7, v11, v7 neg_lo:[0,1] neg_hi:[0,1]
	v_pk_add_f16 v8, v8, v10 neg_lo:[0,1] neg_hi:[0,1]
	v_alignbit_b32 v10, v23, v16, 16
	v_bfi_b32 v11, 0xffff, v24, v15
	v_alignbit_b32 v16, v16, v23, 16
	v_bfi_b32 v15, 0xffff, v15, v24
	v_pk_mul_f16 v22, 0xb70e, v13 op_sel_hi:[0,1]
	v_pk_fma_f16 v9, 0xbcab, v9, v6 op_sel_hi:[0,1,1]
	v_pk_fma_f16 v10, 0xbb00, v8, v10 op_sel_hi:[0,1,1] neg_lo:[0,1,1] neg_hi:[0,1,1]
	v_pk_fma_f16 v11, 0x39e0, v7, v11 op_sel_hi:[0,1,1] neg_lo:[0,1,1] neg_hi:[0,1,1]
	v_pk_fma_f16 v8, 0xbb00, v8, v16 op_sel_hi:[0,1,1] neg_lo:[0,0,1] neg_hi:[0,0,1]
	v_pk_fma_f16 v7, 0x39e0, v7, v15 op_sel_hi:[0,1,1] neg_lo:[0,0,1] neg_hi:[0,0,1]
	v_pk_add_f16 v17, v22, v17 op_sel:[1,0] op_sel_hi:[0,1]
	v_pk_add_f16 v14, v14, v9
	v_pk_fma_f16 v10, 0xb70e, v13, v10 op_sel_hi:[0,1,1]
	v_pk_add_f16 v11, v11, v9
	v_pk_fma_f16 v8, 0xb70e, v13, v8 op_sel_hi:[0,1,1]
	v_pk_add_f16 v7, v7, v9
	v_pk_add_f16 v9, v14, v17
	v_pk_add_f16 v13, v14, v17 neg_lo:[0,1] neg_hi:[0,1]
	v_pk_add_f16 v14, v11, v10 op_sel:[0,1] op_sel_hi:[1,0]
	v_pk_add_f16 v10, v11, v10 op_sel:[0,1] op_sel_hi:[1,0] neg_lo:[0,1] neg_hi:[0,1]
	v_pk_add_f16 v11, v7, v8 op_sel:[0,1] op_sel_hi:[1,0] neg_lo:[0,1] neg_hi:[0,1]
	v_pk_add_f16 v7, v7, v8 op_sel:[0,1] op_sel_hi:[1,0]
	v_add3_u32 v8, 0, v12, v20
	v_bfi_b32 v12, 0xffff, v9, v13
	v_bfi_b32 v15, 0xffff, v14, v10
	;; [unrolled: 1-line block ×6, first 2 shown]
	ds_store_2addr_b32 v8, v6, v12 offset1:1
	ds_store_2addr_b32 v8, v15, v16 offset0:2 offset1:3
	ds_store_2addr_b32 v8, v7, v10 offset0:4 offset1:5
	ds_store_b32 v8, v9 offset:24
.LBB0_14:
	s_wait_alu 0xfffe
	s_or_b32 exec_lo, exec_lo, s1
	v_and_b32_e32 v6, 0xff, v5
	v_and_b32_e32 v7, 0xff, v21
	v_add_nc_u32_e32 v17, 42, v5
	global_wb scope:SCOPE_SE
	s_wait_dscnt 0x0
	s_barrier_signal -1
	v_mul_lo_u16 v6, v6, 37
	v_mul_lo_u16 v7, v7, 37
	v_and_b32_e32 v8, 0xff, v17
	s_barrier_wait -1
	global_inv scope:SCOPE_SE
	v_lshrrev_b16 v6, 8, v6
	v_lshrrev_b16 v7, 8, v7
	v_mul_lo_u16 v10, v8, 37
	s_delay_alu instid0(VALU_DEP_3) | instskip(NEXT) | instid1(VALU_DEP_3)
	v_sub_nc_u16 v9, v5, v6
	v_sub_nc_u16 v11, v21, v7
	s_delay_alu instid0(VALU_DEP_3) | instskip(NEXT) | instid1(VALU_DEP_3)
	v_lshrrev_b16 v10, 8, v10
	v_lshrrev_b16 v9, 1, v9
	s_delay_alu instid0(VALU_DEP_3) | instskip(NEXT) | instid1(VALU_DEP_3)
	v_lshrrev_b16 v11, 1, v11
	v_sub_nc_u16 v12, v17, v10
	s_delay_alu instid0(VALU_DEP_3) | instskip(NEXT) | instid1(VALU_DEP_3)
	v_and_b32_e32 v9, 0x7f, v9
	v_and_b32_e32 v11, 0x7f, v11
	s_delay_alu instid0(VALU_DEP_2) | instskip(NEXT) | instid1(VALU_DEP_4)
	v_add_nc_u16 v6, v9, v6
	v_lshrrev_b16 v9, 1, v12
	s_delay_alu instid0(VALU_DEP_3) | instskip(NEXT) | instid1(VALU_DEP_3)
	v_add_nc_u16 v7, v11, v7
	v_lshrrev_b16 v28, 2, v6
	s_delay_alu instid0(VALU_DEP_3) | instskip(NEXT) | instid1(VALU_DEP_3)
	v_and_b32_e32 v6, 0x7f, v9
	v_lshrrev_b16 v29, 2, v7
	s_delay_alu instid0(VALU_DEP_3) | instskip(NEXT) | instid1(VALU_DEP_3)
	v_mul_lo_u16 v7, v28, 7
	v_add_nc_u16 v6, v6, v10
	s_delay_alu instid0(VALU_DEP_3)
	v_mul_lo_u16 v9, v29, 7
	v_and_b32_e32 v28, 0xffff, v28
	v_and_b32_e32 v29, 0xffff, v29
	v_sub_nc_u16 v7, v5, v7
	v_lshrrev_b16 v30, 2, v6
	v_sub_nc_u16 v6, v21, v9
	v_mad_u32_u24 v28, 0x54, v28, 0
	v_mad_u32_u24 v29, 0x54, v29, 0
	v_and_b32_e32 v31, 0xff, v7
	v_mul_lo_u16 v7, v30, 7
	v_and_b32_e32 v32, 0xff, v6
	v_and_b32_e32 v30, 0xffff, v30
	s_delay_alu instid0(VALU_DEP_4) | instskip(NEXT) | instid1(VALU_DEP_4)
	v_lshlrev_b32_e32 v6, 3, v31
	v_sub_nc_u16 v7, v17, v7
	s_delay_alu instid0(VALU_DEP_4)
	v_lshlrev_b32_e32 v11, 3, v32
	v_lshlrev_b32_e32 v31, 2, v31
	;; [unrolled: 1-line block ×3, first 2 shown]
	global_load_b64 v[9:10], v6, s[8:9]
	v_and_b32_e32 v33, 0xff, v7
	global_load_b64 v[11:12], v11, s[8:9]
	v_lshlrev_b32_e32 v7, 1, v5
	v_mad_u32_u24 v30, 0x54, v30, 0
	v_add3_u32 v28, v28, v31, v20
	v_lshlrev_b32_e32 v6, 3, v33
	v_lshlrev_b32_e32 v31, 2, v33
	v_add3_u32 v29, v29, v32, v20
	global_load_b64 v[13:14], v6, s[8:9]
	v_mul_lo_u16 v6, 0x87, v8
	ds_load_b32 v34, v19
	ds_load_2addr_b32 v[15:16], v18 offset0:42 offset1:63
	ds_load_2addr_b32 v[22:23], v18 offset0:126 offset1:147
	;; [unrolled: 1-line block ×3, first 2 shown]
	v_mov_b32_e32 v8, 0
	v_lshrrev_b16 v35, 8, v6
	v_lshlrev_b32_e32 v6, 2, v21
	v_add3_u32 v30, v30, v31, v20
	s_delay_alu instid0(VALU_DEP_3) | instskip(NEXT) | instid1(VALU_DEP_3)
	v_sub_nc_u16 v26, v17, v35
	v_add3_u32 v6, 0, v6, v20
	s_delay_alu instid0(VALU_DEP_2)
	v_lshrrev_b16 v36, 1, v26
	v_lshlrev_b64_e32 v[26:27], 2, v[7:8]
	ds_load_b32 v7, v6
	ds_load_b32 v37, v18 offset:672
	global_wb scope:SCOPE_SE
	s_wait_loadcnt_dscnt 0x0
	s_barrier_signal -1
	v_and_b32_e32 v36, 0x7f, v36
	v_lshrrev_b32_e32 v39, 16, v16
	v_lshrrev_b32_e32 v40, 16, v22
	;; [unrolled: 1-line block ×4, first 2 shown]
	v_add_nc_u16 v35, v36, v35
	v_lshrrev_b32_e32 v43, 16, v25
	v_lshrrev_b32_e32 v36, 16, v34
	;; [unrolled: 1-line block ×3, first 2 shown]
	v_add_co_u32 v26, s0, s8, v26
	v_lshrrev_b16 v35, 4, v35
	s_wait_alu 0xf1ff
	v_add_co_ci_u32_e64 v27, s0, s9, v27, s0
	s_barrier_wait -1
	global_inv scope:SCOPE_SE
	v_and_b32_e32 v35, 15, v35
	v_lshrrev_b32_e32 v45, 16, v37
	v_lshrrev_b32_e32 v44, 16, v7
	s_delay_alu instid0(VALU_DEP_3) | instskip(NEXT) | instid1(VALU_DEP_1)
	v_mul_lo_u16 v35, v35, 21
	v_sub_nc_u16 v35, v17, v35
	s_delay_alu instid0(VALU_DEP_1) | instskip(NEXT) | instid1(VALU_DEP_1)
	v_and_b32_e32 v32, 0xff, v35
	v_lshlrev_b32_e32 v33, 3, v32
	v_lshrrev_b32_e32 v31, 16, v9
	v_lshrrev_b32_e32 v35, 16, v10
	;; [unrolled: 1-line block ×4, first 2 shown]
	s_delay_alu instid0(VALU_DEP_4)
	v_mul_f16_e32 v48, v31, v39
	v_mul_f16_e32 v31, v31, v16
	;; [unrolled: 1-line block ×6, first 2 shown]
	v_lshrrev_b32_e32 v52, 16, v13
	v_lshrrev_b32_e32 v53, 16, v14
	v_mul_f16_e32 v46, v46, v24
	v_mul_f16_e32 v47, v47, v23
	v_fmac_f16_e32 v48, v9, v16
	v_fma_f16 v9, v9, v39, -v31
	v_fmac_f16_e32 v49, v10, v22
	v_fma_f16 v10, v10, v40, -v35
	v_fmac_f16_e32 v50, v11, v24
	v_fmac_f16_e32 v51, v12, v23
	v_mul_f16_e32 v16, v52, v43
	v_mul_f16_e32 v22, v52, v25
	;; [unrolled: 1-line block ×4, first 2 shown]
	v_fma_f16 v11, v11, v41, -v46
	v_fma_f16 v12, v12, v42, -v47
	v_fmac_f16_e32 v16, v13, v25
	v_fma_f16 v13, v13, v43, -v22
	v_fmac_f16_e32 v23, v37, v14
	v_fma_f16 v14, v45, v14, -v24
	v_add_f16_e32 v24, v48, v49
	v_sub_f16_e32 v25, v9, v10
	v_add_f16_e32 v31, v36, v9
	v_add_f16_e32 v9, v9, v10
	;; [unrolled: 1-line block ×4, first 2 shown]
	v_sub_f16_e32 v40, v11, v12
	v_add_f16_e32 v41, v44, v11
	v_add_f16_e32 v11, v11, v12
	;; [unrolled: 1-line block ×3, first 2 shown]
	v_sub_f16_e32 v35, v48, v49
	v_fmac_f16_e32 v34, -0.5, v24
	v_add_f16_e32 v10, v31, v10
	v_fmac_f16_e32 v36, -0.5, v9
	v_add_f16_e32 v9, v37, v51
	v_add_f16_e32 v24, v16, v23
	v_sub_f16_e32 v31, v13, v14
	v_add_f16_e32 v37, v38, v13
	v_add_f16_e32 v13, v13, v14
	v_sub_f16_e32 v42, v50, v51
	v_fmac_f16_e32 v7, -0.5, v39
	v_fmac_f16_e32 v44, -0.5, v11
	v_add_f16_e32 v22, v22, v49
	v_add_f16_e32 v12, v41, v12
	;; [unrolled: 1-line block ×3, first 2 shown]
	v_sub_f16_e32 v16, v16, v23
	v_fmamk_f16 v39, v25, 0xbaee, v34
	v_fmac_f16_e32 v34, 0x3aee, v25
	v_fmamk_f16 v25, v35, 0x3aee, v36
	v_fmac_f16_e32 v15, -0.5, v24
	v_fmac_f16_e32 v38, -0.5, v13
	v_fmac_f16_e32 v36, 0xbaee, v35
	v_fmamk_f16 v35, v40, 0xbaee, v7
	v_fmac_f16_e32 v7, 0x3aee, v40
	v_fmamk_f16 v40, v42, 0x3aee, v44
	v_fmac_f16_e32 v44, 0xbaee, v42
	v_add_f16_e32 v11, v11, v23
	v_add_f16_e32 v14, v37, v14
	v_pack_b32_f16 v10, v22, v10
	v_pack_b32_f16 v9, v9, v12
	v_fmamk_f16 v12, v31, 0xbaee, v15
	v_fmamk_f16 v13, v16, 0x3aee, v38
	v_fmac_f16_e32 v38, 0xbaee, v16
	v_pack_b32_f16 v16, v39, v25
	v_fmac_f16_e32 v15, 0x3aee, v31
	v_pack_b32_f16 v22, v34, v36
	v_pack_b32_f16 v23, v35, v40
	;; [unrolled: 1-line block ×4, first 2 shown]
	ds_store_2addr_b32 v28, v10, v16 offset1:7
	v_pack_b32_f16 v10, v12, v13
	v_pack_b32_f16 v12, v15, v38
	ds_store_b32 v28, v22 offset:56
	ds_store_2addr_b32 v29, v9, v23 offset1:7
	ds_store_b32 v29, v7 offset:56
	ds_store_2addr_b32 v30, v11, v10 offset1:7
	ds_store_b32 v30, v12 offset:56
	global_wb scope:SCOPE_SE
	s_wait_dscnt 0x0
	s_barrier_signal -1
	s_barrier_wait -1
	global_inv scope:SCOPE_SE
	s_clause 0x1
	global_load_b64 v[9:10], v[26:27], off offset:56
	global_load_b64 v[11:12], v33, s[8:9] offset:56
	v_lshlrev_b32_e32 v7, 1, v21
	v_lshlrev_b32_e32 v30, 2, v32
	s_delay_alu instid0(VALU_DEP_2) | instskip(SKIP_1) | instid1(VALU_DEP_3)
	v_lshlrev_b64_e32 v[13:14], 2, v[7:8]
	v_lshlrev_b32_e32 v7, 1, v17
	v_add3_u32 v20, 0, v30, v20
	s_delay_alu instid0(VALU_DEP_2)
	v_lshlrev_b64_e32 v[15:16], 2, v[7:8]
	ds_load_b32 v7, v19
	ds_load_b32 v17, v6
	ds_load_2addr_b32 v[21:22], v18 offset0:42 offset1:63
	ds_load_b32 v25, v18 offset:672
	ds_load_2addr_b32 v[23:24], v18 offset0:126 offset1:147
	ds_load_2addr_b32 v[28:29], v18 offset0:84 offset1:105
	v_add_co_u32 v13, s0, s8, v13
	s_wait_alu 0xf1ff
	v_add_co_ci_u32_e64 v14, s0, s9, v14, s0
	v_add_co_u32 v15, s0, s8, v15
	s_wait_alu 0xf1ff
	v_add_co_ci_u32_e64 v16, s0, s9, v16, s0
	global_wb scope:SCOPE_SE
	s_wait_loadcnt_dscnt 0x0
	s_barrier_signal -1
	s_barrier_wait -1
	global_inv scope:SCOPE_SE
	v_lshrrev_b32_e32 v30, 16, v7
	v_lshrrev_b32_e32 v31, 16, v17
	;; [unrolled: 1-line block ×13, first 2 shown]
	s_delay_alu instid0(VALU_DEP_4)
	v_mul_f16_e32 v43, v38, v34
	v_mul_f16_e32 v44, v38, v22
	;; [unrolled: 1-line block ×12, first 2 shown]
	v_fmac_f16_e32 v43, v9, v22
	v_fma_f16 v22, v9, v34, -v44
	v_fmac_f16_e32 v45, v10, v23
	v_fma_f16 v23, v10, v35, -v46
	v_fmac_f16_e32 v47, v9, v28
	v_fma_f16 v9, v9, v36, -v38
	v_fmac_f16_e32 v48, v10, v24
	v_fma_f16 v10, v10, v37, -v40
	v_fmac_f16_e32 v49, v11, v29
	v_fma_f16 v11, v11, v39, -v41
	v_fmac_f16_e32 v50, v25, v12
	v_fma_f16 v12, v33, v12, -v42
	v_add_f16_e32 v25, v43, v45
	v_sub_f16_e32 v28, v22, v23
	v_add_f16_e32 v29, v30, v22
	v_add_f16_e32 v22, v22, v23
	v_add_f16_e32 v35, v47, v48
	v_sub_f16_e32 v36, v9, v10
	v_add_f16_e32 v37, v31, v9
	v_add_f16_e32 v9, v9, v10
	;; [unrolled: 4-line block ×3, first 2 shown]
	v_add_f16_e32 v24, v7, v43
	v_sub_f16_e32 v33, v43, v45
	v_fmac_f16_e32 v7, -0.5, v25
	v_fmac_f16_e32 v30, -0.5, v22
	v_add_f16_e32 v34, v17, v47
	v_sub_f16_e32 v38, v47, v48
	v_add_f16_e32 v39, v21, v49
	v_fmac_f16_e32 v17, -0.5, v35
	v_fmac_f16_e32 v31, -0.5, v9
	v_sub_f16_e32 v43, v49, v50
	v_fmac_f16_e32 v21, -0.5, v40
	v_fmac_f16_e32 v32, -0.5, v11
	v_add_f16_e32 v24, v24, v45
	v_add_f16_e32 v23, v29, v23
	v_fmamk_f16 v11, v28, 0xbaee, v7
	v_fmamk_f16 v25, v33, 0x3aee, v30
	v_add_f16_e32 v22, v34, v48
	v_add_f16_e32 v10, v37, v10
	v_fmac_f16_e32 v7, 0x3aee, v28
	v_fmac_f16_e32 v30, 0xbaee, v33
	v_add_f16_e32 v9, v39, v50
	v_add_f16_e32 v12, v42, v12
	v_fmamk_f16 v28, v36, 0xbaee, v17
	v_fmac_f16_e32 v17, 0x3aee, v36
	v_fmamk_f16 v29, v38, 0x3aee, v31
	v_fmac_f16_e32 v31, 0xbaee, v38
	v_fmamk_f16 v33, v41, 0xbaee, v21
	v_fmamk_f16 v34, v43, 0x3aee, v32
	v_fmac_f16_e32 v21, 0x3aee, v41
	v_fmac_f16_e32 v32, 0xbaee, v43
	v_pack_b32_f16 v23, v24, v23
	v_pack_b32_f16 v11, v11, v25
	;; [unrolled: 1-line block ×9, first 2 shown]
	ds_store_2addr_b32 v18, v23, v11 offset1:21
	ds_store_2addr_b32 v18, v7, v10 offset0:42 offset1:63
	ds_store_2addr_b32 v18, v12, v17 offset0:84 offset1:105
	;; [unrolled: 1-line block ×3, first 2 shown]
	ds_store_b32 v20, v21 offset:672
	global_wb scope:SCOPE_SE
	s_wait_dscnt 0x0
	s_barrier_signal -1
	s_barrier_wait -1
	global_inv scope:SCOPE_SE
	s_clause 0x2
	global_load_b64 v[9:10], v[26:27], off offset:224
	global_load_b64 v[11:12], v[13:14], off offset:224
	;; [unrolled: 1-line block ×3, first 2 shown]
	ds_load_b32 v7, v19
	ds_load_b32 v17, v6
	ds_load_2addr_b32 v[15:16], v18 offset0:42 offset1:63
	ds_load_b32 v23, v18 offset:672
	ds_load_2addr_b32 v[19:20], v18 offset0:126 offset1:147
	ds_load_2addr_b32 v[21:22], v18 offset0:84 offset1:105
	global_wb scope:SCOPE_SE
	s_wait_loadcnt_dscnt 0x0
	s_barrier_signal -1
	s_barrier_wait -1
	global_inv scope:SCOPE_SE
	v_lshrrev_b32_e32 v24, 16, v7
	v_lshrrev_b32_e32 v25, 16, v17
	;; [unrolled: 1-line block ×15, first 2 shown]
	v_mul_f16_e32 v39, v33, v28
	v_mul_f16_e32 v33, v33, v16
	;; [unrolled: 1-line block ×12, first 2 shown]
	v_fmac_f16_e32 v39, v9, v16
	v_fma_f16 v9, v9, v28, -v33
	v_fmac_f16_e32 v40, v10, v19
	v_fma_f16 v10, v10, v29, -v34
	;; [unrolled: 2-line block ×6, first 2 shown]
	v_add_f16_e32 v19, v39, v40
	v_sub_f16_e32 v20, v9, v10
	v_add_f16_e32 v21, v24, v9
	v_add_f16_e32 v9, v9, v10
	;; [unrolled: 1-line block ×3, first 2 shown]
	v_sub_f16_e32 v28, v11, v12
	v_add_f16_e32 v29, v25, v11
	v_add_f16_e32 v11, v11, v12
	;; [unrolled: 1-line block ×4, first 2 shown]
	v_sub_f16_e32 v33, v13, v14
	v_add_f16_e32 v34, v26, v13
	v_add_f16_e32 v13, v13, v14
	v_sub_f16_e32 v22, v39, v40
	v_add_f16_e32 v23, v17, v41
	v_fmac_f16_e32 v7, -0.5, v19
	v_fmac_f16_e32 v24, -0.5, v9
	v_sub_f16_e32 v30, v41, v42
	v_fmac_f16_e32 v17, -0.5, v27
	v_fmac_f16_e32 v25, -0.5, v11
	v_add_f16_e32 v31, v15, v43
	v_sub_f16_e32 v35, v43, v44
	v_add_f16_e32 v16, v16, v40
	v_add_f16_e32 v10, v21, v10
	v_fmac_f16_e32 v15, -0.5, v32
	v_fmac_f16_e32 v26, -0.5, v13
	v_add_f16_e32 v9, v23, v42
	v_add_f16_e32 v12, v29, v12
	v_fmamk_f16 v13, v20, 0xbaee, v7
	v_fmamk_f16 v19, v22, 0x3aee, v24
	v_fmac_f16_e32 v7, 0x3aee, v20
	v_fmac_f16_e32 v24, 0xbaee, v22
	v_fmamk_f16 v20, v28, 0xbaee, v17
	v_fmamk_f16 v21, v30, 0x3aee, v25
	v_add_f16_e32 v11, v31, v44
	v_add_f16_e32 v14, v34, v14
	v_fmac_f16_e32 v17, 0x3aee, v28
	v_fmac_f16_e32 v25, 0xbaee, v30
	v_fmamk_f16 v22, v33, 0xbaee, v15
	v_fmac_f16_e32 v15, 0x3aee, v33
	v_fmamk_f16 v23, v35, 0x3aee, v26
	v_fmac_f16_e32 v26, 0xbaee, v35
	v_pack_b32_f16 v10, v16, v10
	v_pack_b32_f16 v9, v9, v12
	;; [unrolled: 1-line block ×9, first 2 shown]
	ds_store_b32 v18, v10
	ds_store_b32 v18, v12 offset:252
	ds_store_b32 v18, v7 offset:504
	ds_store_2addr_b32 v6, v9, v13 offset1:63
	ds_store_b32 v6, v14 offset:504
	ds_store_b32 v18, v11 offset:168
	;; [unrolled: 1-line block ×4, first 2 shown]
	global_wb scope:SCOPE_SE
	s_wait_dscnt 0x0
	s_barrier_signal -1
	s_barrier_wait -1
	global_inv scope:SCOPE_SE
	s_and_saveexec_b32 s0, vcc_lo
	s_cbranch_execz .LBB0_16
; %bb.15:
	v_mul_lo_u32 v6, s3, v3
	v_mul_lo_u32 v7, s2, v4
	v_mad_co_u64_u32 v[3:4], null, s2, v3, 0
	v_lshl_add_u32 v29, v5, 2, v0
	v_lshlrev_b64_e32 v[0:1], 2, v[1:2]
	ds_load_2addr_b32 v[9:10], v29 offset1:21
	v_add3_u32 v4, v4, v7, v6
	v_dual_mov_b32 v6, v8 :: v_dual_add_nc_u32 v7, 21, v5
	ds_load_2addr_b32 v[19:20], v29 offset0:84 offset1:105
	ds_load_2addr_b32 v[25:26], v29 offset0:126 offset1:147
	v_lshlrev_b64_e32 v[2:3], 2, v[3:4]
	v_lshlrev_b64_e32 v[11:12], 2, v[5:6]
	;; [unrolled: 1-line block ×3, first 2 shown]
	v_add_nc_u32_e32 v7, 42, v5
	s_delay_alu instid0(VALU_DEP_4) | instskip(SKIP_2) | instid1(VALU_DEP_3)
	v_add_co_u32 v4, vcc_lo, s6, v2
	s_wait_alu 0xfffd
	v_add_co_ci_u32_e32 v6, vcc_lo, s7, v3, vcc_lo
	v_lshlrev_b64_e32 v[2:3], 2, v[7:8]
	v_add_nc_u32_e32 v7, 63, v5
	v_add_co_u32 v30, vcc_lo, v4, v0
	s_wait_alu 0xfffd
	v_add_co_ci_u32_e32 v31, vcc_lo, v6, v1, vcc_lo
	s_delay_alu instid0(VALU_DEP_3) | instskip(SKIP_4) | instid1(VALU_DEP_3)
	v_lshlrev_b64_e32 v[15:16], 2, v[7:8]
	v_add_nc_u32_e32 v7, 0x54, v5
	v_add_co_u32 v0, vcc_lo, v30, v11
	s_wait_alu 0xfffd
	v_add_co_ci_u32_e32 v1, vcc_lo, v31, v12, vcc_lo
	v_lshlrev_b64_e32 v[17:18], 2, v[7:8]
	v_add_nc_u32_e32 v7, 0x69, v5
	v_add_co_u32 v11, vcc_lo, v30, v13
	s_wait_alu 0xfffd
	v_add_co_ci_u32_e32 v12, vcc_lo, v31, v14, vcc_lo
	s_delay_alu instid0(VALU_DEP_3)
	v_lshlrev_b64_e32 v[21:22], 2, v[7:8]
	v_add_nc_u32_e32 v7, 0x7e, v5
	v_add_co_u32 v2, vcc_lo, v30, v2
	ds_load_2addr_b32 v[13:14], v29 offset0:42 offset1:63
	s_wait_alu 0xfffd
	v_add_co_ci_u32_e32 v3, vcc_lo, v31, v3, vcc_lo
	v_lshlrev_b64_e32 v[23:24], 2, v[7:8]
	v_add_nc_u32_e32 v7, 0x93, v5
	v_add_co_u32 v15, vcc_lo, v30, v15
	s_wait_alu 0xfffd
	v_add_co_ci_u32_e32 v16, vcc_lo, v31, v16, vcc_lo
	v_add_co_u32 v17, vcc_lo, v30, v17
	v_lshlrev_b64_e32 v[27:28], 2, v[7:8]
	v_add_nc_u32_e32 v7, 0xa8, v5
	s_wait_alu 0xfffd
	v_add_co_ci_u32_e32 v18, vcc_lo, v31, v18, vcc_lo
	ds_load_b32 v29, v29 offset:672
	v_add_co_u32 v21, vcc_lo, v30, v21
	s_wait_alu 0xfffd
	v_add_co_ci_u32_e32 v22, vcc_lo, v31, v22, vcc_lo
	v_add_co_u32 v4, vcc_lo, v30, v23
	v_lshlrev_b64_e32 v[6:7], 2, v[7:8]
	s_wait_alu 0xfffd
	v_add_co_ci_u32_e32 v5, vcc_lo, v31, v24, vcc_lo
	v_add_co_u32 v23, vcc_lo, v30, v27
	s_wait_alu 0xfffd
	v_add_co_ci_u32_e32 v24, vcc_lo, v31, v28, vcc_lo
	v_add_co_u32 v6, vcc_lo, v30, v6
	s_wait_alu 0xfffd
	v_add_co_ci_u32_e32 v7, vcc_lo, v31, v7, vcc_lo
	s_wait_dscnt 0x4
	s_clause 0x1
	global_store_b32 v[0:1], v9, off
	global_store_b32 v[11:12], v10, off
	s_wait_dscnt 0x1
	s_clause 0x5
	global_store_b32 v[2:3], v13, off
	global_store_b32 v[15:16], v14, off
	;; [unrolled: 1-line block ×6, first 2 shown]
	s_wait_dscnt 0x0
	global_store_b32 v[6:7], v29, off
.LBB0_16:
	s_nop 0
	s_sendmsg sendmsg(MSG_DEALLOC_VGPRS)
	s_endpgm
	.section	.rodata,"a",@progbits
	.p2align	6, 0x0
	.amdhsa_kernel fft_rtc_back_len189_factors_7_3_3_3_wgs_63_tpt_21_half_op_CI_CI_unitstride_sbrr_dirReg
		.amdhsa_group_segment_fixed_size 0
		.amdhsa_private_segment_fixed_size 0
		.amdhsa_kernarg_size 104
		.amdhsa_user_sgpr_count 2
		.amdhsa_user_sgpr_dispatch_ptr 0
		.amdhsa_user_sgpr_queue_ptr 0
		.amdhsa_user_sgpr_kernarg_segment_ptr 1
		.amdhsa_user_sgpr_dispatch_id 0
		.amdhsa_user_sgpr_private_segment_size 0
		.amdhsa_wavefront_size32 1
		.amdhsa_uses_dynamic_stack 0
		.amdhsa_enable_private_segment 0
		.amdhsa_system_sgpr_workgroup_id_x 1
		.amdhsa_system_sgpr_workgroup_id_y 0
		.amdhsa_system_sgpr_workgroup_id_z 0
		.amdhsa_system_sgpr_workgroup_info 0
		.amdhsa_system_vgpr_workitem_id 0
		.amdhsa_next_free_vgpr 54
		.amdhsa_next_free_sgpr 39
		.amdhsa_reserve_vcc 1
		.amdhsa_float_round_mode_32 0
		.amdhsa_float_round_mode_16_64 0
		.amdhsa_float_denorm_mode_32 3
		.amdhsa_float_denorm_mode_16_64 3
		.amdhsa_fp16_overflow 0
		.amdhsa_workgroup_processor_mode 1
		.amdhsa_memory_ordered 1
		.amdhsa_forward_progress 0
		.amdhsa_round_robin_scheduling 0
		.amdhsa_exception_fp_ieee_invalid_op 0
		.amdhsa_exception_fp_denorm_src 0
		.amdhsa_exception_fp_ieee_div_zero 0
		.amdhsa_exception_fp_ieee_overflow 0
		.amdhsa_exception_fp_ieee_underflow 0
		.amdhsa_exception_fp_ieee_inexact 0
		.amdhsa_exception_int_div_zero 0
	.end_amdhsa_kernel
	.text
.Lfunc_end0:
	.size	fft_rtc_back_len189_factors_7_3_3_3_wgs_63_tpt_21_half_op_CI_CI_unitstride_sbrr_dirReg, .Lfunc_end0-fft_rtc_back_len189_factors_7_3_3_3_wgs_63_tpt_21_half_op_CI_CI_unitstride_sbrr_dirReg
                                        ; -- End function
	.section	.AMDGPU.csdata,"",@progbits
; Kernel info:
; codeLenInByte = 6232
; NumSgprs: 41
; NumVgprs: 54
; ScratchSize: 0
; MemoryBound: 0
; FloatMode: 240
; IeeeMode: 1
; LDSByteSize: 0 bytes/workgroup (compile time only)
; SGPRBlocks: 5
; VGPRBlocks: 6
; NumSGPRsForWavesPerEU: 41
; NumVGPRsForWavesPerEU: 54
; Occupancy: 16
; WaveLimiterHint : 1
; COMPUTE_PGM_RSRC2:SCRATCH_EN: 0
; COMPUTE_PGM_RSRC2:USER_SGPR: 2
; COMPUTE_PGM_RSRC2:TRAP_HANDLER: 0
; COMPUTE_PGM_RSRC2:TGID_X_EN: 1
; COMPUTE_PGM_RSRC2:TGID_Y_EN: 0
; COMPUTE_PGM_RSRC2:TGID_Z_EN: 0
; COMPUTE_PGM_RSRC2:TIDIG_COMP_CNT: 0
	.text
	.p2alignl 7, 3214868480
	.fill 96, 4, 3214868480
	.type	__hip_cuid_c5a925d9f5229aa3,@object ; @__hip_cuid_c5a925d9f5229aa3
	.section	.bss,"aw",@nobits
	.globl	__hip_cuid_c5a925d9f5229aa3
__hip_cuid_c5a925d9f5229aa3:
	.byte	0                               ; 0x0
	.size	__hip_cuid_c5a925d9f5229aa3, 1

	.ident	"AMD clang version 19.0.0git (https://github.com/RadeonOpenCompute/llvm-project roc-6.4.0 25133 c7fe45cf4b819c5991fe208aaa96edf142730f1d)"
	.section	".note.GNU-stack","",@progbits
	.addrsig
	.addrsig_sym __hip_cuid_c5a925d9f5229aa3
	.amdgpu_metadata
---
amdhsa.kernels:
  - .args:
      - .actual_access:  read_only
        .address_space:  global
        .offset:         0
        .size:           8
        .value_kind:     global_buffer
      - .offset:         8
        .size:           8
        .value_kind:     by_value
      - .actual_access:  read_only
        .address_space:  global
        .offset:         16
        .size:           8
        .value_kind:     global_buffer
      - .actual_access:  read_only
        .address_space:  global
        .offset:         24
        .size:           8
        .value_kind:     global_buffer
      - .actual_access:  read_only
        .address_space:  global
        .offset:         32
        .size:           8
        .value_kind:     global_buffer
      - .offset:         40
        .size:           8
        .value_kind:     by_value
      - .actual_access:  read_only
        .address_space:  global
        .offset:         48
        .size:           8
        .value_kind:     global_buffer
      - .actual_access:  read_only
        .address_space:  global
        .offset:         56
        .size:           8
        .value_kind:     global_buffer
      - .offset:         64
        .size:           4
        .value_kind:     by_value
      - .actual_access:  read_only
        .address_space:  global
        .offset:         72
        .size:           8
        .value_kind:     global_buffer
      - .actual_access:  read_only
        .address_space:  global
        .offset:         80
        .size:           8
        .value_kind:     global_buffer
      - .actual_access:  read_only
        .address_space:  global
        .offset:         88
        .size:           8
        .value_kind:     global_buffer
      - .actual_access:  write_only
        .address_space:  global
        .offset:         96
        .size:           8
        .value_kind:     global_buffer
    .group_segment_fixed_size: 0
    .kernarg_segment_align: 8
    .kernarg_segment_size: 104
    .language:       OpenCL C
    .language_version:
      - 2
      - 0
    .max_flat_workgroup_size: 63
    .name:           fft_rtc_back_len189_factors_7_3_3_3_wgs_63_tpt_21_half_op_CI_CI_unitstride_sbrr_dirReg
    .private_segment_fixed_size: 0
    .sgpr_count:     41
    .sgpr_spill_count: 0
    .symbol:         fft_rtc_back_len189_factors_7_3_3_3_wgs_63_tpt_21_half_op_CI_CI_unitstride_sbrr_dirReg.kd
    .uniform_work_group_size: 1
    .uses_dynamic_stack: false
    .vgpr_count:     54
    .vgpr_spill_count: 0
    .wavefront_size: 32
    .workgroup_processor_mode: 1
amdhsa.target:   amdgcn-amd-amdhsa--gfx1201
amdhsa.version:
  - 1
  - 2
...

	.end_amdgpu_metadata
